;; amdgpu-corpus repo=zjin-lcf/HeCBench kind=compiled arch=gfx906 opt=O3
	.amdgcn_target "amdgcn-amd-amdhsa--gfx906"
	.amdhsa_code_object_version 6
	.text
	.protected	_Z9toCoef2DXPfjjj       ; -- Begin function _Z9toCoef2DXPfjjj
	.globl	_Z9toCoef2DXPfjjj
	.p2align	8
	.type	_Z9toCoef2DXPfjjj,@function
_Z9toCoef2DXPfjjj:                      ; @_Z9toCoef2DXPfjjj
; %bb.0:
	s_load_dword s7, s[4:5], 0x24
	s_load_dwordx4 s[0:3], s[4:5], 0x8
	s_waitcnt lgkmcnt(0)
	s_and_b32 s3, s7, 0xffff
	s_mul_i32 s6, s6, s3
	v_add_u32_e32 v0, s6, v0
	v_cmp_gt_u32_e32 vcc, s2, v0
	s_and_saveexec_b64 s[2:3], vcc
	s_cbranch_execz .LBB0_10
; %bb.1:
	s_load_dwordx2 s[2:3], s[4:5], 0x0
	v_mul_lo_u32 v0, v0, s0
	s_cmp_eq_u32 s1, 0
	s_waitcnt lgkmcnt(0)
	global_load_dword v4, v0, s[2:3]
	v_mov_b32_e32 v1, s3
	v_add_co_u32_e32 v0, vcc, s2, v0
	v_addc_co_u32_e32 v1, vcc, 0, v1, vcc
	s_cbranch_scc1 .LBB0_4
; %bb.2:
	v_mov_b32_e32 v3, v1
	s_min_u32 s0, s1, 12
	v_mov_b32_e32 v5, 0xbe8930a4
	v_mov_b32_e32 v2, v0
.LBB0_3:                                ; =>This Inner Loop Header: Depth=1
	global_load_dword v6, v[2:3], off
	v_add_co_u32_e32 v2, vcc, 4, v2
	s_add_i32 s0, s0, -1
	v_addc_co_u32_e32 v3, vcc, 0, v3, vcc
	s_cmp_lg_u32 s0, 0
	s_waitcnt vmcnt(0)
	v_fmac_f32_e32 v4, v5, v6
	v_mul_f32_e32 v5, 0xbe8930a4, v5
	s_cbranch_scc1 .LBB0_3
.LBB0_4:
	s_waitcnt vmcnt(0)
	v_mul_f32_e32 v2, 0x40bfffff, v4
	s_cmp_lt_u32 s1, 2
	global_store_dword v[0:1], v2, off
	s_cbranch_scc1 .LBB0_7
; %bb.5:
	s_add_i32 s0, s1, -1
.LBB0_6:                                ; =>This Inner Loop Header: Depth=1
	global_load_dword v5, v[0:1], off offset:4
	v_mov_b32_e32 v4, v1
	v_mov_b32_e32 v3, v0
	v_mul_f32_e32 v2, 0xbe8930a4, v2
	s_add_i32 s0, s0, -1
	v_add_co_u32_e32 v0, vcc, 4, v3
	v_addc_co_u32_e32 v1, vcc, 0, v4, vcc
	s_cmp_eq_u32 s0, 0
	s_waitcnt vmcnt(0)
	v_fmac_f32_e32 v2, 0x40bfffff, v5
	global_store_dword v[3:4], v2, off offset:4
	s_cbranch_scc0 .LBB0_6
.LBB0_7:
	s_add_i32 s0, s1, -2
	v_mul_f32_e32 v2, 0x3e58658d, v2
	s_cmp_lt_i32 s0, 0
	global_store_dword v[0:1], v2, off
	s_cbranch_scc1 .LBB0_10
; %bb.8:
	v_add_co_u32_e32 v0, vcc, -4, v0
	s_add_i32 s0, s1, -1
	v_addc_co_u32_e32 v1, vcc, -1, v1, vcc
.LBB0_9:                                ; =>This Inner Loop Header: Depth=1
	global_load_dword v3, v[0:1], off
	s_add_i32 s0, s0, -1
	s_cmp_lg_u32 s0, 0
	s_waitcnt vmcnt(0)
	v_sub_f32_e32 v2, v2, v3
	v_mul_f32_e32 v2, 0xbe8930a4, v2
	global_store_dword v[0:1], v2, off
	v_add_co_u32_e32 v0, vcc, -4, v0
	v_addc_co_u32_e32 v1, vcc, -1, v1, vcc
	s_cbranch_scc1 .LBB0_9
.LBB0_10:
	s_endpgm
	.section	.rodata,"a",@progbits
	.p2align	6, 0x0
	.amdhsa_kernel _Z9toCoef2DXPfjjj
		.amdhsa_group_segment_fixed_size 0
		.amdhsa_private_segment_fixed_size 0
		.amdhsa_kernarg_size 280
		.amdhsa_user_sgpr_count 6
		.amdhsa_user_sgpr_private_segment_buffer 1
		.amdhsa_user_sgpr_dispatch_ptr 0
		.amdhsa_user_sgpr_queue_ptr 0
		.amdhsa_user_sgpr_kernarg_segment_ptr 1
		.amdhsa_user_sgpr_dispatch_id 0
		.amdhsa_user_sgpr_flat_scratch_init 0
		.amdhsa_user_sgpr_private_segment_size 0
		.amdhsa_uses_dynamic_stack 0
		.amdhsa_system_sgpr_private_segment_wavefront_offset 0
		.amdhsa_system_sgpr_workgroup_id_x 1
		.amdhsa_system_sgpr_workgroup_id_y 0
		.amdhsa_system_sgpr_workgroup_id_z 0
		.amdhsa_system_sgpr_workgroup_info 0
		.amdhsa_system_vgpr_workitem_id 0
		.amdhsa_next_free_vgpr 7
		.amdhsa_next_free_sgpr 8
		.amdhsa_reserve_vcc 1
		.amdhsa_reserve_flat_scratch 0
		.amdhsa_float_round_mode_32 0
		.amdhsa_float_round_mode_16_64 0
		.amdhsa_float_denorm_mode_32 3
		.amdhsa_float_denorm_mode_16_64 3
		.amdhsa_dx10_clamp 1
		.amdhsa_ieee_mode 1
		.amdhsa_fp16_overflow 0
		.amdhsa_exception_fp_ieee_invalid_op 0
		.amdhsa_exception_fp_denorm_src 0
		.amdhsa_exception_fp_ieee_div_zero 0
		.amdhsa_exception_fp_ieee_overflow 0
		.amdhsa_exception_fp_ieee_underflow 0
		.amdhsa_exception_fp_ieee_inexact 0
		.amdhsa_exception_int_div_zero 0
	.end_amdhsa_kernel
	.text
.Lfunc_end0:
	.size	_Z9toCoef2DXPfjjj, .Lfunc_end0-_Z9toCoef2DXPfjjj
                                        ; -- End function
	.set _Z9toCoef2DXPfjjj.num_vgpr, 7
	.set _Z9toCoef2DXPfjjj.num_agpr, 0
	.set _Z9toCoef2DXPfjjj.numbered_sgpr, 8
	.set _Z9toCoef2DXPfjjj.num_named_barrier, 0
	.set _Z9toCoef2DXPfjjj.private_seg_size, 0
	.set _Z9toCoef2DXPfjjj.uses_vcc, 1
	.set _Z9toCoef2DXPfjjj.uses_flat_scratch, 0
	.set _Z9toCoef2DXPfjjj.has_dyn_sized_stack, 0
	.set _Z9toCoef2DXPfjjj.has_recursion, 0
	.set _Z9toCoef2DXPfjjj.has_indirect_call, 0
	.section	.AMDGPU.csdata,"",@progbits
; Kernel info:
; codeLenInByte = 352
; TotalNumSgprs: 12
; NumVgprs: 7
; ScratchSize: 0
; MemoryBound: 0
; FloatMode: 240
; IeeeMode: 1
; LDSByteSize: 0 bytes/workgroup (compile time only)
; SGPRBlocks: 1
; VGPRBlocks: 1
; NumSGPRsForWavesPerEU: 12
; NumVGPRsForWavesPerEU: 7
; Occupancy: 10
; WaveLimiterHint : 0
; COMPUTE_PGM_RSRC2:SCRATCH_EN: 0
; COMPUTE_PGM_RSRC2:USER_SGPR: 6
; COMPUTE_PGM_RSRC2:TRAP_HANDLER: 0
; COMPUTE_PGM_RSRC2:TGID_X_EN: 1
; COMPUTE_PGM_RSRC2:TGID_Y_EN: 0
; COMPUTE_PGM_RSRC2:TGID_Z_EN: 0
; COMPUTE_PGM_RSRC2:TIDIG_COMP_CNT: 0
	.text
	.protected	_Z9toCoef2DYPfjjj       ; -- Begin function _Z9toCoef2DYPfjjj
	.globl	_Z9toCoef2DYPfjjj
	.p2align	8
	.type	_Z9toCoef2DYPfjjj,@function
_Z9toCoef2DYPfjjj:                      ; @_Z9toCoef2DYPfjjj
; %bb.0:
	s_load_dword s7, s[4:5], 0x24
	s_load_dwordx4 s[0:3], s[4:5], 0x8
	s_waitcnt lgkmcnt(0)
	s_and_b32 s3, s7, 0xffff
	s_mul_i32 s6, s6, s3
	v_add_u32_e32 v0, s6, v0
	v_cmp_gt_u32_e32 vcc, s1, v0
	s_and_saveexec_b64 s[6:7], vcc
	s_cbranch_execz .LBB1_10
; %bb.1:
	s_load_dwordx2 s[4:5], s[4:5], 0x0
	v_mov_b32_e32 v1, 0
	v_lshlrev_b64 v[0:1], 2, v[0:1]
	s_cmp_eq_u32 s2, 0
	s_waitcnt lgkmcnt(0)
	v_mov_b32_e32 v2, s5
	v_add_co_u32_e32 v0, vcc, s4, v0
	v_addc_co_u32_e32 v1, vcc, v2, v1, vcc
	global_load_dword v4, v[0:1], off
	s_cbranch_scc1 .LBB1_4
; %bb.2:
	s_ashr_i32 s3, s0, 31
	v_mov_b32_e32 v3, v1
	s_min_u32 s1, s2, 12
	v_mov_b32_e32 v5, 0xbe8930a4
	v_mov_b32_e32 v6, s3
	;; [unrolled: 1-line block ×3, first 2 shown]
.LBB1_3:                                ; =>This Inner Loop Header: Depth=1
	global_load_dword v7, v[2:3], off
	v_add_co_u32_e32 v2, vcc, s0, v2
	s_add_i32 s1, s1, -1
	v_addc_co_u32_e32 v3, vcc, v3, v6, vcc
	s_cmp_lg_u32 s1, 0
	s_waitcnt vmcnt(0)
	v_fmac_f32_e32 v4, v5, v7
	v_mul_f32_e32 v5, 0xbe8930a4, v5
	s_cbranch_scc1 .LBB1_3
.LBB1_4:
	s_waitcnt vmcnt(0)
	v_mul_f32_e32 v2, 0x40bfffff, v4
	s_cmp_lt_u32 s2, 2
	global_store_dword v[0:1], v2, off
	s_cbranch_scc1 .LBB1_7
; %bb.5:
	s_ashr_i32 s3, s0, 31
	s_add_i32 s1, s2, -1
	v_mov_b32_e32 v3, s3
.LBB1_6:                                ; =>This Inner Loop Header: Depth=1
	v_add_co_u32_e32 v0, vcc, s0, v0
	v_addc_co_u32_e32 v1, vcc, v1, v3, vcc
	global_load_dword v4, v[0:1], off
	v_mul_f32_e32 v2, 0xbe8930a4, v2
	s_add_i32 s1, s1, -1
	s_cmp_eq_u32 s1, 0
	s_waitcnt vmcnt(0)
	v_fmac_f32_e32 v2, 0x40bfffff, v4
	global_store_dword v[0:1], v2, off
	s_cbranch_scc0 .LBB1_6
.LBB1_7:
	s_add_i32 s1, s2, -2
	v_mul_f32_e32 v2, 0x3e58658d, v2
	s_cmp_lt_i32 s1, 0
	global_store_dword v[0:1], v2, off
	s_cbranch_scc1 .LBB1_10
; %bb.8:
	s_ashr_i32 s1, s0, 31
	s_sub_u32 s0, 0, s0
	s_subb_u32 s3, 0, s1
	v_mov_b32_e32 v3, s3
	v_add_co_u32_e32 v0, vcc, s0, v0
	s_add_i32 s1, s2, -1
	v_addc_co_u32_e32 v1, vcc, v1, v3, vcc
.LBB1_9:                                ; =>This Inner Loop Header: Depth=1
	global_load_dword v4, v[0:1], off
	s_add_i32 s1, s1, -1
	s_cmp_lg_u32 s1, 0
	s_waitcnt vmcnt(0)
	v_sub_f32_e32 v2, v2, v4
	v_mul_f32_e32 v2, 0xbe8930a4, v2
	global_store_dword v[0:1], v2, off
	v_add_co_u32_e32 v0, vcc, s0, v0
	v_addc_co_u32_e32 v1, vcc, v1, v3, vcc
	s_cbranch_scc1 .LBB1_9
.LBB1_10:
	s_endpgm
	.section	.rodata,"a",@progbits
	.p2align	6, 0x0
	.amdhsa_kernel _Z9toCoef2DYPfjjj
		.amdhsa_group_segment_fixed_size 0
		.amdhsa_private_segment_fixed_size 0
		.amdhsa_kernarg_size 280
		.amdhsa_user_sgpr_count 6
		.amdhsa_user_sgpr_private_segment_buffer 1
		.amdhsa_user_sgpr_dispatch_ptr 0
		.amdhsa_user_sgpr_queue_ptr 0
		.amdhsa_user_sgpr_kernarg_segment_ptr 1
		.amdhsa_user_sgpr_dispatch_id 0
		.amdhsa_user_sgpr_flat_scratch_init 0
		.amdhsa_user_sgpr_private_segment_size 0
		.amdhsa_uses_dynamic_stack 0
		.amdhsa_system_sgpr_private_segment_wavefront_offset 0
		.amdhsa_system_sgpr_workgroup_id_x 1
		.amdhsa_system_sgpr_workgroup_id_y 0
		.amdhsa_system_sgpr_workgroup_id_z 0
		.amdhsa_system_sgpr_workgroup_info 0
		.amdhsa_system_vgpr_workitem_id 0
		.amdhsa_next_free_vgpr 8
		.amdhsa_next_free_sgpr 8
		.amdhsa_reserve_vcc 1
		.amdhsa_reserve_flat_scratch 0
		.amdhsa_float_round_mode_32 0
		.amdhsa_float_round_mode_16_64 0
		.amdhsa_float_denorm_mode_32 3
		.amdhsa_float_denorm_mode_16_64 3
		.amdhsa_dx10_clamp 1
		.amdhsa_ieee_mode 1
		.amdhsa_fp16_overflow 0
		.amdhsa_exception_fp_ieee_invalid_op 0
		.amdhsa_exception_fp_denorm_src 0
		.amdhsa_exception_fp_ieee_div_zero 0
		.amdhsa_exception_fp_ieee_overflow 0
		.amdhsa_exception_fp_ieee_underflow 0
		.amdhsa_exception_fp_ieee_inexact 0
		.amdhsa_exception_int_div_zero 0
	.end_amdhsa_kernel
	.text
.Lfunc_end1:
	.size	_Z9toCoef2DYPfjjj, .Lfunc_end1-_Z9toCoef2DYPfjjj
                                        ; -- End function
	.set _Z9toCoef2DYPfjjj.num_vgpr, 8
	.set _Z9toCoef2DYPfjjj.num_agpr, 0
	.set _Z9toCoef2DYPfjjj.numbered_sgpr, 8
	.set _Z9toCoef2DYPfjjj.num_named_barrier, 0
	.set _Z9toCoef2DYPfjjj.private_seg_size, 0
	.set _Z9toCoef2DYPfjjj.uses_vcc, 1
	.set _Z9toCoef2DYPfjjj.uses_flat_scratch, 0
	.set _Z9toCoef2DYPfjjj.has_dyn_sized_stack, 0
	.set _Z9toCoef2DYPfjjj.has_recursion, 0
	.set _Z9toCoef2DYPfjjj.has_indirect_call, 0
	.section	.AMDGPU.csdata,"",@progbits
; Kernel info:
; codeLenInByte = 380
; TotalNumSgprs: 12
; NumVgprs: 8
; ScratchSize: 0
; MemoryBound: 0
; FloatMode: 240
; IeeeMode: 1
; LDSByteSize: 0 bytes/workgroup (compile time only)
; SGPRBlocks: 1
; VGPRBlocks: 1
; NumSGPRsForWavesPerEU: 12
; NumVGPRsForWavesPerEU: 8
; Occupancy: 10
; WaveLimiterHint : 0
; COMPUTE_PGM_RSRC2:SCRATCH_EN: 0
; COMPUTE_PGM_RSRC2:USER_SGPR: 6
; COMPUTE_PGM_RSRC2:TRAP_HANDLER: 0
; COMPUTE_PGM_RSRC2:TGID_X_EN: 1
; COMPUTE_PGM_RSRC2:TGID_Y_EN: 0
; COMPUTE_PGM_RSRC2:TGID_Z_EN: 0
; COMPUTE_PGM_RSRC2:TIDIG_COMP_CNT: 0
	.section	.AMDGPU.gpr_maximums,"",@progbits
	.set amdgpu.max_num_vgpr, 0
	.set amdgpu.max_num_agpr, 0
	.set amdgpu.max_num_sgpr, 0
	.section	.AMDGPU.csdata,"",@progbits
	.type	__hip_cuid_42eb837769f060d4,@object ; @__hip_cuid_42eb837769f060d4
	.section	.bss,"aw",@nobits
	.globl	__hip_cuid_42eb837769f060d4
__hip_cuid_42eb837769f060d4:
	.byte	0                               ; 0x0
	.size	__hip_cuid_42eb837769f060d4, 1

	.ident	"AMD clang version 22.0.0git (https://github.com/RadeonOpenCompute/llvm-project roc-7.2.4 26084 f58b06dce1f9c15707c5f808fd002e18c2accf7e)"
	.section	".note.GNU-stack","",@progbits
	.addrsig
	.addrsig_sym __hip_cuid_42eb837769f060d4
	.amdgpu_metadata
---
amdhsa.kernels:
  - .args:
      - .address_space:  global
        .offset:         0
        .size:           8
        .value_kind:     global_buffer
      - .offset:         8
        .size:           4
        .value_kind:     by_value
      - .offset:         12
        .size:           4
        .value_kind:     by_value
      - .offset:         16
        .size:           4
        .value_kind:     by_value
      - .offset:         24
        .size:           4
        .value_kind:     hidden_block_count_x
      - .offset:         28
        .size:           4
        .value_kind:     hidden_block_count_y
      - .offset:         32
        .size:           4
        .value_kind:     hidden_block_count_z
      - .offset:         36
        .size:           2
        .value_kind:     hidden_group_size_x
      - .offset:         38
        .size:           2
        .value_kind:     hidden_group_size_y
      - .offset:         40
        .size:           2
        .value_kind:     hidden_group_size_z
      - .offset:         42
        .size:           2
        .value_kind:     hidden_remainder_x
      - .offset:         44
        .size:           2
        .value_kind:     hidden_remainder_y
      - .offset:         46
        .size:           2
        .value_kind:     hidden_remainder_z
      - .offset:         64
        .size:           8
        .value_kind:     hidden_global_offset_x
      - .offset:         72
        .size:           8
        .value_kind:     hidden_global_offset_y
      - .offset:         80
        .size:           8
        .value_kind:     hidden_global_offset_z
      - .offset:         88
        .size:           2
        .value_kind:     hidden_grid_dims
    .group_segment_fixed_size: 0
    .kernarg_segment_align: 8
    .kernarg_segment_size: 280
    .language:       OpenCL C
    .language_version:
      - 2
      - 0
    .max_flat_workgroup_size: 1024
    .name:           _Z9toCoef2DXPfjjj
    .private_segment_fixed_size: 0
    .sgpr_count:     12
    .sgpr_spill_count: 0
    .symbol:         _Z9toCoef2DXPfjjj.kd
    .uniform_work_group_size: 1
    .uses_dynamic_stack: false
    .vgpr_count:     7
    .vgpr_spill_count: 0
    .wavefront_size: 64
  - .args:
      - .address_space:  global
        .offset:         0
        .size:           8
        .value_kind:     global_buffer
      - .offset:         8
        .size:           4
        .value_kind:     by_value
      - .offset:         12
        .size:           4
        .value_kind:     by_value
      - .offset:         16
        .size:           4
        .value_kind:     by_value
      - .offset:         24
        .size:           4
        .value_kind:     hidden_block_count_x
      - .offset:         28
        .size:           4
        .value_kind:     hidden_block_count_y
      - .offset:         32
        .size:           4
        .value_kind:     hidden_block_count_z
      - .offset:         36
        .size:           2
        .value_kind:     hidden_group_size_x
      - .offset:         38
        .size:           2
        .value_kind:     hidden_group_size_y
      - .offset:         40
        .size:           2
        .value_kind:     hidden_group_size_z
      - .offset:         42
        .size:           2
        .value_kind:     hidden_remainder_x
      - .offset:         44
        .size:           2
        .value_kind:     hidden_remainder_y
      - .offset:         46
        .size:           2
        .value_kind:     hidden_remainder_z
      - .offset:         64
        .size:           8
        .value_kind:     hidden_global_offset_x
      - .offset:         72
        .size:           8
        .value_kind:     hidden_global_offset_y
      - .offset:         80
        .size:           8
        .value_kind:     hidden_global_offset_z
      - .offset:         88
        .size:           2
        .value_kind:     hidden_grid_dims
    .group_segment_fixed_size: 0
    .kernarg_segment_align: 8
    .kernarg_segment_size: 280
    .language:       OpenCL C
    .language_version:
      - 2
      - 0
    .max_flat_workgroup_size: 1024
    .name:           _Z9toCoef2DYPfjjj
    .private_segment_fixed_size: 0
    .sgpr_count:     12
    .sgpr_spill_count: 0
    .symbol:         _Z9toCoef2DYPfjjj.kd
    .uniform_work_group_size: 1
    .uses_dynamic_stack: false
    .vgpr_count:     8
    .vgpr_spill_count: 0
    .wavefront_size: 64
amdhsa.target:   amdgcn-amd-amdhsa--gfx906
amdhsa.version:
  - 1
  - 2
...

	.end_amdgpu_metadata
